;; amdgpu-corpus repo=zjin-lcf/HeCBench kind=compiled arch=gfx1250 opt=O3
	.amdgcn_target "amdgcn-amd-amdhsa--gfx1250"
	.amdhsa_code_object_version 6
	.text
	.protected	_Z16tensor_transposeiiiiPKiS0_PKfS2_S0_S0_S0_PKdPd ; -- Begin function _Z16tensor_transposeiiiiPKiS0_PKfS2_S0_S0_S0_PKdPd
	.globl	_Z16tensor_transposeiiiiPKiS0_PKfS2_S0_S0_S0_PKdPd
	.p2align	8
	.type	_Z16tensor_transposeiiiiPKiS0_PKfS2_S0_S0_S0_PKdPd,@function
_Z16tensor_transposeiiiiPKiS0_PKfS2_S0_S0_S0_PKdPd: ; @_Z16tensor_transposeiiiiPKiS0_PKfS2_S0_S0_S0_PKdPd
; %bb.0:
	s_load_b128 s[20:23], s[0:1], 0x0
	s_bfe_u32 s2, ttmp6, 0x4000c
	s_and_b32 s3, ttmp6, 15
	s_add_co_i32 s2, s2, 1
	s_getreg_b32 s4, hwreg(HW_REG_IB_STS2, 6, 4)
	s_mul_i32 s2, ttmp9, s2
	s_delay_alu instid0(SALU_CYCLE_1)
	s_add_co_i32 s3, s3, s2
	s_cmp_eq_u32 s4, 0
	s_cselect_b32 s3, ttmp9, s3
	s_wait_kmcnt 0x0
	s_cmp_ge_i32 s3, s22
	s_cbranch_scc1 .LBB0_16
; %bb.1:
	s_clause 0x1
	s_load_b96 s[24:26], s[0:1], 0x50
	s_load_b512 s[4:19], s[0:1], 0x10
	s_cmp_gt_i32 s20, 0
	v_cmp_gt_i32_e64 s2, s23, v0
	v_lshlrev_b32_e32 v1, 3, v0
	s_cselect_b32 s27, -1, 0
	s_cmp_gt_i32 s21, 0
	s_wait_xcnt 0x0
	s_add_nc_u64 s[0:1], s[0:1], 0x58
	s_cselect_b32 s33, -1, 0
	s_mul_i32 s38, s3, s23
	s_wait_kmcnt 0x0
	s_mul_i32 s39, s26, s23
	s_branch .LBB0_3
.LBB0_2:                                ;   in Loop: Header=BB0_3 Depth=1
	s_or_b32 exec_lo, exec_lo, s41
	s_add_co_i32 s3, s26, s3
	s_add_co_i32 s38, s38, s39
	s_cmp_ge_i32 s3, s22
	s_wait_storecnt 0x0
	s_barrier_signal -1
	s_barrier_wait -1
	s_cbranch_scc1 .LBB0_16
.LBB0_3:                                ; =>This Loop Header: Depth=1
                                        ;     Child Loop BB0_5 Depth 2
                                        ;     Child Loop BB0_8 Depth 2
	;; [unrolled: 1-line block ×3, first 2 shown]
                                        ;       Child Loop BB0_15 Depth 3
	s_mov_b32 s40, 0
	s_and_not1_b32 vcc_lo, exec_lo, s27
	s_cbranch_vccnz .LBB0_6
; %bb.4:                                ;   in Loop: Header=BB0_3 Depth=1
	s_mov_b64 s[28:29], s[4:5]
	s_mov_b64 s[30:31], s[12:13]
	s_mov_b64 s[34:35], s[8:9]
	s_mov_b32 s36, s20
	s_mov_b32 s37, s3
.LBB0_5:                                ;   Parent Loop BB0_3 Depth=1
                                        ; =>  This Inner Loop Header: Depth=2
	s_load_b32 s41, s[34:35], 0x0
	s_load_b32 s42, s[28:29], 0x0
	s_load_b32 s43, s[30:31], 0x0
	s_cvt_f32_i32 s44, s37
	s_add_co_i32 s36, s36, -1
	s_wait_xcnt 0x0
	s_add_nc_u64 s[34:35], s[34:35], 4
	s_add_nc_u64 s[30:31], s[30:31], 4
	;; [unrolled: 1-line block ×3, first 2 shown]
	s_wait_kmcnt 0x0
	s_mul_f32 s41, s41, s44
	s_delay_alu instid0(SALU_CYCLE_3) | instskip(NEXT) | instid1(SALU_CYCLE_3)
	s_cvt_i32_f32 s41, s41
	s_mul_i32 s42, s42, s41
	s_delay_alu instid0(SALU_CYCLE_1) | instskip(NEXT) | instid1(SALU_CYCLE_1)
	s_sub_co_i32 s37, s37, s42
	s_mul_i32 s37, s37, s43
	s_delay_alu instid0(SALU_CYCLE_1)
	s_add_co_i32 s40, s37, s40
	s_cmp_eq_u32 s36, 0
	s_mov_b32 s37, s41
	s_cbranch_scc0 .LBB0_5
.LBB0_6:                                ;   in Loop: Header=BB0_3 Depth=1
	s_and_saveexec_b32 s28, s2
	s_cbranch_execz .LBB0_9
; %bb.7:                                ;   in Loop: Header=BB0_3 Depth=1
	s_load_b32 s29, s[0:1], 0xc
	v_dual_mov_b32 v2, v1 :: v_dual_mov_b32 v3, v0
	s_mov_b32 s31, 0
	s_wait_kmcnt 0x0
	s_and_b32 s29, s29, 0xffff
	s_delay_alu instid0(SALU_CYCLE_1)
	s_lshl_b32 s30, s29, 3
.LBB0_8:                                ;   Parent Loop BB0_3 Depth=1
                                        ; =>  This Inner Loop Header: Depth=2
	v_dual_add_nc_u32 v4, s38, v3 :: v_dual_add_nc_u32 v3, s29, v3
	global_load_b64 v[4:5], v4, s[18:19] scale_offset
	v_cmp_le_i32_e32 vcc_lo, s23, v3
	s_or_b32 s31, vcc_lo, s31
	s_wait_loadcnt 0x0
	ds_store_b64 v2, v[4:5]
	v_add_nc_u32_e32 v2, s30, v2
	s_wait_xcnt 0x0
	s_and_not1_b32 exec_lo, exec_lo, s31
	s_cbranch_execnz .LBB0_8
.LBB0_9:                                ;   in Loop: Header=BB0_3 Depth=1
	s_or_b32 exec_lo, exec_lo, s28
	s_wait_dscnt 0x0
	s_barrier_signal -1
	s_barrier_wait -1
	s_and_saveexec_b32 s41, s2
	s_cbranch_execz .LBB0_2
; %bb.10:                               ;   in Loop: Header=BB0_3 Depth=1
	s_load_b32 s28, s[0:1], 0xc
	v_mov_b32_e32 v2, v0
	s_mov_b32 s43, 0
	s_wait_kmcnt 0x0
	s_and_b32 s42, s28, 0xffff
	s_branch .LBB0_13
.LBB0_11:                               ;   in Loop: Header=BB0_13 Depth=2
	v_mov_b32_e32 v4, 0
.LBB0_12:                               ;   in Loop: Header=BB0_13 Depth=2
	s_delay_alu instid0(VALU_DEP_2)
	v_dual_lshlrev_b32 v3, 3, v3 :: v_dual_add_nc_u32 v2, s42, v2
	ds_load_b64 v[6:7], v3
	v_cmp_le_i32_e32 vcc_lo, s23, v2
	v_add_nc_u32_e32 v3, s40, v4
	s_or_b32 s43, vcc_lo, s43
	s_wait_dscnt 0x0
	global_store_b64 v3, v[6:7], s[24:25] scale_offset
	s_wait_xcnt 0x0
	s_and_not1_b32 exec_lo, exec_lo, s43
	s_cbranch_execz .LBB0_2
.LBB0_13:                               ;   Parent Loop BB0_3 Depth=1
                                        ; =>  This Loop Header: Depth=2
                                        ;       Child Loop BB0_15 Depth 3
	v_mov_b32_e32 v3, 0
	s_and_not1_b32 vcc_lo, exec_lo, s33
	s_cbranch_vccnz .LBB0_11
; %bb.14:                               ;   in Loop: Header=BB0_13 Depth=2
	v_dual_mov_b32 v4, 0 :: v_dual_mov_b32 v5, v2
	s_mov_b64 s[28:29], s[14:15]
	s_mov_b64 s[30:31], s[16:17]
	;; [unrolled: 1-line block ×4, first 2 shown]
	s_mov_b32 s44, s21
.LBB0_15:                               ;   Parent Loop BB0_3 Depth=1
                                        ;     Parent Loop BB0_13 Depth=2
                                        ; =>    This Inner Loop Header: Depth=3
	s_load_b32 s45, s[36:37], 0x0
	s_load_b32 s46, s[34:35], 0x0
	v_cvt_f32_i32_e32 v6, v5
	s_load_b32 s47, s[28:29], 0x0
	s_add_co_i32 s44, s44, -1
	s_wait_xcnt 0x0
	s_add_nc_u64 s[36:37], s[36:37], 4
	s_add_nc_u64 s[34:35], s[34:35], 4
	s_cmp_eq_u32 s44, 0
	s_add_nc_u64 s[28:29], s[28:29], 4
	s_wait_kmcnt 0x0
	v_mul_f32_e32 v6, s45, v6
	s_load_b32 s45, s[30:31], 0x0
	s_wait_xcnt 0x0
	s_add_nc_u64 s[30:31], s[30:31], 4
	s_delay_alu instid0(VALU_DEP_1) | instskip(NEXT) | instid1(VALU_DEP_1)
	v_cvt_i32_f32_e32 v6, v6
	v_mul_lo_u32 v7, s46, v6
	s_delay_alu instid0(VALU_DEP_1) | instskip(SKIP_1) | instid1(VALU_DEP_1)
	v_sub_nc_u32_e32 v5, v5, v7
	s_wait_kmcnt 0x0
	v_mad_u32 v4, v5, s45, v4
	v_mad_u32 v3, v5, s47, v3
	v_mov_b32_e32 v5, v6
	s_cbranch_scc0 .LBB0_15
	s_branch .LBB0_12
.LBB0_16:
	s_endpgm
	.section	.rodata,"a",@progbits
	.p2align	6, 0x0
	.amdhsa_kernel _Z16tensor_transposeiiiiPKiS0_PKfS2_S0_S0_S0_PKdPd
		.amdhsa_group_segment_fixed_size 47200
		.amdhsa_private_segment_fixed_size 0
		.amdhsa_kernarg_size 344
		.amdhsa_user_sgpr_count 2
		.amdhsa_user_sgpr_dispatch_ptr 0
		.amdhsa_user_sgpr_queue_ptr 0
		.amdhsa_user_sgpr_kernarg_segment_ptr 1
		.amdhsa_user_sgpr_dispatch_id 0
		.amdhsa_user_sgpr_kernarg_preload_length 0
		.amdhsa_user_sgpr_kernarg_preload_offset 0
		.amdhsa_user_sgpr_private_segment_size 0
		.amdhsa_wavefront_size32 1
		.amdhsa_uses_dynamic_stack 0
		.amdhsa_enable_private_segment 0
		.amdhsa_system_sgpr_workgroup_id_x 1
		.amdhsa_system_sgpr_workgroup_id_y 0
		.amdhsa_system_sgpr_workgroup_id_z 0
		.amdhsa_system_sgpr_workgroup_info 0
		.amdhsa_system_vgpr_workitem_id 0
		.amdhsa_next_free_vgpr 8
		.amdhsa_next_free_sgpr 48
		.amdhsa_named_barrier_count 0
		.amdhsa_reserve_vcc 1
		.amdhsa_float_round_mode_32 0
		.amdhsa_float_round_mode_16_64 0
		.amdhsa_float_denorm_mode_32 3
		.amdhsa_float_denorm_mode_16_64 3
		.amdhsa_fp16_overflow 0
		.amdhsa_memory_ordered 1
		.amdhsa_forward_progress 1
		.amdhsa_inst_pref_size 6
		.amdhsa_round_robin_scheduling 0
		.amdhsa_exception_fp_ieee_invalid_op 0
		.amdhsa_exception_fp_denorm_src 0
		.amdhsa_exception_fp_ieee_div_zero 0
		.amdhsa_exception_fp_ieee_overflow 0
		.amdhsa_exception_fp_ieee_underflow 0
		.amdhsa_exception_fp_ieee_inexact 0
		.amdhsa_exception_int_div_zero 0
	.end_amdhsa_kernel
	.text
.Lfunc_end0:
	.size	_Z16tensor_transposeiiiiPKiS0_PKfS2_S0_S0_S0_PKdPd, .Lfunc_end0-_Z16tensor_transposeiiiiPKiS0_PKfS2_S0_S0_S0_PKdPd
                                        ; -- End function
	.set _Z16tensor_transposeiiiiPKiS0_PKfS2_S0_S0_S0_PKdPd.num_vgpr, 8
	.set _Z16tensor_transposeiiiiPKiS0_PKfS2_S0_S0_S0_PKdPd.num_agpr, 0
	.set _Z16tensor_transposeiiiiPKiS0_PKfS2_S0_S0_S0_PKdPd.numbered_sgpr, 48
	.set _Z16tensor_transposeiiiiPKiS0_PKfS2_S0_S0_S0_PKdPd.num_named_barrier, 0
	.set _Z16tensor_transposeiiiiPKiS0_PKfS2_S0_S0_S0_PKdPd.private_seg_size, 0
	.set _Z16tensor_transposeiiiiPKiS0_PKfS2_S0_S0_S0_PKdPd.uses_vcc, 1
	.set _Z16tensor_transposeiiiiPKiS0_PKfS2_S0_S0_S0_PKdPd.uses_flat_scratch, 0
	.set _Z16tensor_transposeiiiiPKiS0_PKfS2_S0_S0_S0_PKdPd.has_dyn_sized_stack, 0
	.set _Z16tensor_transposeiiiiPKiS0_PKfS2_S0_S0_S0_PKdPd.has_recursion, 0
	.set _Z16tensor_transposeiiiiPKiS0_PKfS2_S0_S0_S0_PKdPd.has_indirect_call, 0
	.section	.AMDGPU.csdata,"",@progbits
; Kernel info:
; codeLenInByte = 708
; TotalNumSgprs: 50
; NumVgprs: 8
; ScratchSize: 0
; MemoryBound: 0
; FloatMode: 240
; IeeeMode: 1
; LDSByteSize: 47200 bytes/workgroup (compile time only)
; SGPRBlocks: 0
; VGPRBlocks: 0
; NumSGPRsForWavesPerEU: 50
; NumVGPRsForWavesPerEU: 8
; NamedBarCnt: 0
; Occupancy: 16
; WaveLimiterHint : 0
; COMPUTE_PGM_RSRC2:SCRATCH_EN: 0
; COMPUTE_PGM_RSRC2:USER_SGPR: 2
; COMPUTE_PGM_RSRC2:TRAP_HANDLER: 0
; COMPUTE_PGM_RSRC2:TGID_X_EN: 1
; COMPUTE_PGM_RSRC2:TGID_Y_EN: 0
; COMPUTE_PGM_RSRC2:TGID_Z_EN: 0
; COMPUTE_PGM_RSRC2:TIDIG_COMP_CNT: 0
	.text
	.p2alignl 7, 3214868480
	.fill 96, 4, 3214868480
	.section	.AMDGPU.gpr_maximums,"",@progbits
	.set amdgpu.max_num_vgpr, 0
	.set amdgpu.max_num_agpr, 0
	.set amdgpu.max_num_sgpr, 0
	.text
	.type	__hip_cuid_f7e22f3946d9dbf1,@object ; @__hip_cuid_f7e22f3946d9dbf1
	.section	.bss,"aw",@nobits
	.globl	__hip_cuid_f7e22f3946d9dbf1
__hip_cuid_f7e22f3946d9dbf1:
	.byte	0                               ; 0x0
	.size	__hip_cuid_f7e22f3946d9dbf1, 1

	.ident	"AMD clang version 22.0.0git (https://github.com/RadeonOpenCompute/llvm-project roc-7.2.4 26084 f58b06dce1f9c15707c5f808fd002e18c2accf7e)"
	.section	".note.GNU-stack","",@progbits
	.addrsig
	.addrsig_sym __hip_cuid_f7e22f3946d9dbf1
	.amdgpu_metadata
---
amdhsa.kernels:
  - .args:
      - .offset:         0
        .size:           4
        .value_kind:     by_value
      - .offset:         4
        .size:           4
        .value_kind:     by_value
      - .offset:         8
        .size:           4
        .value_kind:     by_value
      - .offset:         12
        .size:           4
        .value_kind:     by_value
      - .address_space:  global
        .offset:         16
        .size:           8
        .value_kind:     global_buffer
      - .address_space:  global
        .offset:         24
        .size:           8
        .value_kind:     global_buffer
      - .address_space:  global
        .offset:         32
        .size:           8
        .value_kind:     global_buffer
      - .address_space:  global
        .offset:         40
        .size:           8
        .value_kind:     global_buffer
      - .address_space:  global
        .offset:         48
        .size:           8
        .value_kind:     global_buffer
      - .address_space:  global
        .offset:         56
        .size:           8
        .value_kind:     global_buffer
      - .address_space:  global
        .offset:         64
        .size:           8
        .value_kind:     global_buffer
      - .address_space:  global
        .offset:         72
        .size:           8
        .value_kind:     global_buffer
      - .address_space:  global
        .offset:         80
        .size:           8
        .value_kind:     global_buffer
      - .offset:         88
        .size:           4
        .value_kind:     hidden_block_count_x
      - .offset:         92
        .size:           4
        .value_kind:     hidden_block_count_y
      - .offset:         96
        .size:           4
        .value_kind:     hidden_block_count_z
      - .offset:         100
        .size:           2
        .value_kind:     hidden_group_size_x
      - .offset:         102
        .size:           2
        .value_kind:     hidden_group_size_y
      - .offset:         104
        .size:           2
        .value_kind:     hidden_group_size_z
      - .offset:         106
        .size:           2
        .value_kind:     hidden_remainder_x
      - .offset:         108
        .size:           2
        .value_kind:     hidden_remainder_y
      - .offset:         110
        .size:           2
        .value_kind:     hidden_remainder_z
      - .offset:         128
        .size:           8
        .value_kind:     hidden_global_offset_x
      - .offset:         136
        .size:           8
        .value_kind:     hidden_global_offset_y
      - .offset:         144
        .size:           8
        .value_kind:     hidden_global_offset_z
      - .offset:         152
        .size:           2
        .value_kind:     hidden_grid_dims
    .group_segment_fixed_size: 47200
    .kernarg_segment_align: 8
    .kernarg_segment_size: 344
    .language:       OpenCL C
    .language_version:
      - 2
      - 0
    .max_flat_workgroup_size: 1024
    .name:           _Z16tensor_transposeiiiiPKiS0_PKfS2_S0_S0_S0_PKdPd
    .private_segment_fixed_size: 0
    .sgpr_count:     50
    .sgpr_spill_count: 0
    .symbol:         _Z16tensor_transposeiiiiPKiS0_PKfS2_S0_S0_S0_PKdPd.kd
    .uniform_work_group_size: 1
    .uses_dynamic_stack: false
    .vgpr_count:     8
    .vgpr_spill_count: 0
    .wavefront_size: 32
amdhsa.target:   amdgcn-amd-amdhsa--gfx1250
amdhsa.version:
  - 1
  - 2
...

	.end_amdgpu_metadata
